;; amdgpu-corpus repo=triton-lang/triton kind=triton arch=gfx1201 opt=O3 lang=triton
	.amdgcn_target "amdgcn-amd-amdhsa--gfx1201"
	.amdhsa_code_object_version 5
	.text
	.globl	online_softmax_kernel           ; -- Begin function online_softmax_kernel
	.p2align	8
	.type	online_softmax_kernel,@function
online_softmax_kernel:                  ; @online_softmax_kernel
.Lfunc_begin0:
	.file	1 "/root/src/amdgpu-assembly/repos/triton-lang__triton-aot" "softmax_online.py"
	.loc	1 8 0                           ; softmax_online.py:8:0
	.cfi_sections .debug_frame
	.cfi_startproc
; %bb.0:
	s_load_b128 s[8:11], s[0:1], 0x8
.Ltmp0:
	.file	2 "/root/.local/lib/python3.13/site-packages/triton/language" "standard.py"
	.loc	2 293 36 prologue_end           ; standard.py:293:36 @[ softmax_online.py:20:43 ]
	s_bfe_u32 s2, ttmp8, 0x50019
.Ltmp1:
	.loc	1 16 34                         ; softmax_online.py:16:34
	v_and_b32_e32 v1, 31, v0
	s_lshl_b32 s3, s2, 5
	s_mov_b32 s18, 0
	s_and_b32 s3, s3, 0x60
	s_delay_alu instid0(VALU_DEP_1) | instid1(SALU_CYCLE_1)
	v_or_b32_e32 v6, s3, v1
	v_add_nc_u32_e32 v7, s3, v1
	.loc	1 11 23                         ; softmax_online.py:11:23
	s_wait_kmcnt 0x0
	s_mul_i32 s4, s10, ttmp9
	s_delay_alu instid0(SALU_CYCLE_1) | instskip(NEXT) | instid1(SALU_CYCLE_1)
	.loc	1 11 17 is_stmt 0               ; softmax_online.py:11:17
	s_ashr_i32 s5, s4, 31
	s_lshl_b64 s[14:15], s[4:5], 2
	.loc	1 15 32 is_stmt 1               ; softmax_online.py:15:32
	s_cmp_gt_i32 s11, 0
	.loc	1 11 17                         ; softmax_online.py:11:17
	s_add_nc_u64 s[12:13], s[8:9], s[14:15]
	.loc	1 15 32                         ; softmax_online.py:15:32
	s_cselect_b32 s17, -1, 0
	s_cmp_lt_i32 s11, 1
	s_cbranch_scc1 .LBB0_31
; %bb.1:                                ; %.lr.ph
	.loc	1 0 32 is_stmt 0                ; softmax_online.py:0:32
	v_dual_mov_b32 v5, 0 :: v_dual_and_b32 v2, 3, v0
	s_and_b32 s4, s2, 3
	v_cmp_gt_u32_e64 s2, 4, v0
	v_lshl_add_u32 v3, v0, 2, 0
	s_delay_alu instid0(VALU_DEP_3)
	v_cmp_eq_u32_e64 s3, 0, v2
	v_mov_b32_e32 v4, 0
	s_lshl2_add_u32 s19, s4, 0
	s_mov_b32 s21, 0xff800000
	v_cmp_eq_u32_e32 vcc_lo, 0, v1
	s_and_b32 s20, s2, s3
	s_branch .LBB0_3
.LBB0_2:                                ;   in Loop: Header=BB0_3 Depth=1
	s_wait_alu depctr_sa_sdst(0)
	s_or_b32 exec_lo, exec_lo, s6
.Ltmp2:
	.loc	2 293 36 is_stmt 1              ; standard.py:293:36 @[ softmax_online.py:20:43 ]
	s_wait_loadcnt_dscnt 0x0
	s_barrier_signal -1
.Ltmp3:
	.loc	1 20 0                          ; softmax_online.py:20
	s_fmac_f32 s4, s3, 0x3fb8aa3b
	.loc	1 15 32                         ; softmax_online.py:15:32
	s_addk_co_i32 s18, 0x400
	s_mov_b32 s21, s16
	s_wait_alu depctr_sa_sdst(0)
	s_cmp_ge_i32 s18, s11
	.loc	1 20 0                          ; softmax_online.py:20
	v_s_exp_f32 s3, s4
	s_delay_alu instid0(TRANS32_DEP_1)
	s_mul_f32 s3, s3, s5
.Ltmp4:
	.loc	2 293 36                        ; standard.py:293:36 @[ softmax_online.py:20:43 ]
	s_barrier_wait -1
	global_inv scope:SCOPE_SE
	ds_load_b32 v8, v4
.Ltmp5:
	.loc	1 20 36                         ; softmax_online.py:20:36
	s_wait_dscnt 0x0
	s_wait_alu depctr_sa_sdst(0)
	v_fmac_f32_e32 v8, s3, v5
	s_delay_alu instid0(VALU_DEP_1)
	v_mov_b32_e32 v5, v8
	.loc	1 15 32                         ; softmax_online.py:15:32
	s_cbranch_scc1 .LBB0_32
.LBB0_3:                                ; =>This Inner Loop Header: Depth=1
	.loc	1 0 32 is_stmt 0                ; softmax_online.py:0:32
	v_dual_mov_b32 v9, 0xff800000 :: v_dual_add_nc_u32 v0, s18, v7
	v_mov_b32_e32 v8, 0xff800000
	.loc	1 17 20 is_stmt 1               ; softmax_online.py:17:20
	s_mov_b32 s4, exec_lo
	s_delay_alu instid0(VALU_DEP_2)
	.loc	1 17 50 is_stmt 0               ; softmax_online.py:17:50
	v_cmpx_gt_i32_e64 s11, v0
	.loc	1 17 20                         ; softmax_online.py:17:20
	s_cbranch_execz .LBB0_5
; %bb.4:                                ;   in Loop: Header=BB0_3 Depth=1
	.loc	1 0 20                          ; softmax_online.py:0:20
	v_ashrrev_i32_e32 v1, 31, v0
	s_delay_alu instid0(VALU_DEP_1) | instskip(NEXT) | instid1(VALU_DEP_1)
	v_lshlrev_b64_e32 v[1:2], 2, v[0:1]
	v_add_co_u32 v1, s3, s12, v1
	s_wait_alu depctr_va_sdst(0)
	s_delay_alu instid0(VALU_DEP_2)
	v_add_co_ci_u32_e64 v2, null, s13, v2, s3
	.loc	1 17 20                         ; softmax_online.py:17:20
	global_load_b32 v9, v[1:2], off
.LBB0_5:                                ;   in Loop: Header=BB0_3 Depth=1
	.loc	1 0 20                          ; softmax_online.py:0:20
	s_wait_alu depctr_sa_sdst(0)
	s_or_b32 exec_lo, exec_lo, s4
	.loc	1 17 32                         ; softmax_online.py:17:32
	s_ashr_i32 s3, s18, 31
	v_add_co_u32 v1, s4, s18, v6
	s_wait_alu depctr_sa_sdst(0) depctr_va_sdst(0)
	v_add_co_ci_u32_e64 v2, null, s3, 0, s4
	.loc	1 16 21 is_stmt 1               ; softmax_online.py:16:21
	v_add_nc_u32_e32 v10, 0x80, v0
	s_delay_alu instid0(VALU_DEP_2) | instskip(NEXT) | instid1(VALU_DEP_1)
	.loc	1 17 32                         ; softmax_online.py:17:32
	v_lshlrev_b64_e32 v[1:2], 2, v[1:2]
	v_add_co_u32 v1, s4, s12, v1
	s_wait_alu depctr_va_sdst(0)
	s_delay_alu instid0(VALU_DEP_2)
	v_add_co_ci_u32_e64 v2, null, s13, v2, s4
	.loc	1 17 20 is_stmt 0               ; softmax_online.py:17:20
	s_mov_b32 s4, exec_lo
	.loc	1 17 50                         ; softmax_online.py:17:50
	v_cmpx_gt_i32_e64 s11, v10
	.loc	1 17 20                         ; softmax_online.py:17:20
	s_cbranch_execz .LBB0_7
; %bb.6:                                ;   in Loop: Header=BB0_3 Depth=1
	global_load_b32 v8, v[1:2], off offset:512
.LBB0_7:                                ;   in Loop: Header=BB0_3 Depth=1
	.loc	1 0 20                          ; softmax_online.py:0:20
	s_wait_alu depctr_sa_sdst(0)
	s_or_b32 exec_lo, exec_lo, s4
	.loc	1 16 21 is_stmt 1               ; softmax_online.py:16:21
	v_add_nc_u32_e32 v11, 0x100, v0
	v_mov_b32_e32 v10, 0xff800000
	s_delay_alu instid0(VALU_DEP_2)
	.loc	1 17 50                         ; softmax_online.py:17:50
	v_cmp_gt_i32_e64 s3, s11, v11
	v_mov_b32_e32 v11, 0xff800000
	.loc	1 17 20 is_stmt 0               ; softmax_online.py:17:20
	s_and_saveexec_b32 s4, s3
	s_cbranch_execz .LBB0_9
; %bb.8:                                ;   in Loop: Header=BB0_3 Depth=1
	global_load_b32 v11, v[1:2], off offset:1024
.LBB0_9:                                ;   in Loop: Header=BB0_3 Depth=1
	.loc	1 0 20                          ; softmax_online.py:0:20
	s_wait_alu depctr_sa_sdst(0)
	s_or_b32 exec_lo, exec_lo, s4
	.loc	1 16 21 is_stmt 1               ; softmax_online.py:16:21
	v_add_nc_u32_e32 v12, 0x180, v0
	.loc	1 17 20                         ; softmax_online.py:17:20
	s_mov_b32 s4, exec_lo
	s_delay_alu instid0(VALU_DEP_1)
	.loc	1 17 50 is_stmt 0               ; softmax_online.py:17:50
	v_cmpx_gt_i32_e64 s11, v12
	.loc	1 17 20                         ; softmax_online.py:17:20
	s_cbranch_execz .LBB0_11
; %bb.10:                               ;   in Loop: Header=BB0_3 Depth=1
	global_load_b32 v10, v[1:2], off offset:1536
.LBB0_11:                               ;   in Loop: Header=BB0_3 Depth=1
	.loc	1 0 20                          ; softmax_online.py:0:20
	s_wait_alu depctr_sa_sdst(0)
	s_or_b32 exec_lo, exec_lo, s4
	.loc	1 16 21 is_stmt 1               ; softmax_online.py:16:21
	v_add_nc_u32_e32 v13, 0x200, v0
	v_mov_b32_e32 v12, 0xff800000
	s_delay_alu instid0(VALU_DEP_2)
	.loc	1 17 50                         ; softmax_online.py:17:50
	v_cmp_gt_i32_e64 s3, s11, v13
	v_mov_b32_e32 v13, 0xff800000
	.loc	1 17 20 is_stmt 0               ; softmax_online.py:17:20
	s_and_saveexec_b32 s4, s3
	s_cbranch_execz .LBB0_13
; %bb.12:                               ;   in Loop: Header=BB0_3 Depth=1
	global_load_b32 v13, v[1:2], off offset:2048
.LBB0_13:                               ;   in Loop: Header=BB0_3 Depth=1
	.loc	1 0 20                          ; softmax_online.py:0:20
	s_wait_alu depctr_sa_sdst(0)
	s_or_b32 exec_lo, exec_lo, s4
	.loc	1 16 21 is_stmt 1               ; softmax_online.py:16:21
	v_add_nc_u32_e32 v14, 0x280, v0
	.loc	1 17 20                         ; softmax_online.py:17:20
	s_mov_b32 s4, exec_lo
	s_delay_alu instid0(VALU_DEP_1)
	.loc	1 17 50 is_stmt 0               ; softmax_online.py:17:50
	v_cmpx_gt_i32_e64 s11, v14
	.loc	1 17 20                         ; softmax_online.py:17:20
	s_cbranch_execz .LBB0_15
; %bb.14:                               ;   in Loop: Header=BB0_3 Depth=1
	global_load_b32 v12, v[1:2], off offset:2560
.LBB0_15:                               ;   in Loop: Header=BB0_3 Depth=1
	.loc	1 0 20                          ; softmax_online.py:0:20
	s_wait_alu depctr_sa_sdst(0)
	s_or_b32 exec_lo, exec_lo, s4
	.loc	1 16 21 is_stmt 1               ; softmax_online.py:16:21
	v_add_nc_u32_e32 v15, 0x300, v0
	v_mov_b32_e32 v14, 0xff800000
	s_delay_alu instid0(VALU_DEP_2)
	.loc	1 17 50                         ; softmax_online.py:17:50
	v_cmp_gt_i32_e64 s3, s11, v15
	v_mov_b32_e32 v15, 0xff800000
	.loc	1 17 20 is_stmt 0               ; softmax_online.py:17:20
	s_and_saveexec_b32 s4, s3
	s_cbranch_execz .LBB0_17
; %bb.16:                               ;   in Loop: Header=BB0_3 Depth=1
	global_load_b32 v15, v[1:2], off offset:3072
.LBB0_17:                               ;   in Loop: Header=BB0_3 Depth=1
	.loc	1 0 20                          ; softmax_online.py:0:20
	s_wait_alu depctr_sa_sdst(0)
	s_or_b32 exec_lo, exec_lo, s4
	.loc	1 17 50                         ; softmax_online.py:17:50
	v_add_nc_u32_e32 v0, 0x380, v0
	.loc	1 17 20                         ; softmax_online.py:17:20
	s_mov_b32 s4, exec_lo
	s_delay_alu instid0(VALU_DEP_1)
	.loc	1 17 50                         ; softmax_online.py:17:50
	v_cmpx_gt_i32_e64 s11, v0
	.loc	1 17 20                         ; softmax_online.py:17:20
	s_cbranch_execz .LBB0_19
; %bb.18:                               ;   in Loop: Header=BB0_3 Depth=1
	global_load_b32 v14, v[1:2], off offset:3584
.LBB0_19:                               ;   in Loop: Header=BB0_3 Depth=1
	.loc	1 0 20                          ; softmax_online.py:0:20
	s_wait_alu depctr_sa_sdst(0)
	s_or_b32 exec_lo, exec_lo, s4
.Ltmp6:
	.loc	2 170 27 is_stmt 1              ; standard.py:170:27 @[ standard.py:191:40 @[ softmax_online.py:18:27 ] ]
	s_wait_loadcnt 0x0
	v_dual_max_num_f32 v0, v8, v8 :: v_dual_max_num_f32 v1, v9, v9
.Ltmp7:
	.loc	2 191 40                        ; standard.py:191:40 @[ softmax_online.py:18:27 ]
	s_barrier_signal -1
	s_delay_alu instid0(VALU_DEP_1) | instskip(NEXT) | instid1(VALU_DEP_1)
.Ltmp8:
	.loc	2 170 27                        ; standard.py:170:27 @[ standard.py:191:40 @[ softmax_online.py:18:27 ] ]
	v_max_num_f32_e32 v0, v1, v0
	v_max3_num_f32 v0, v0, v11, v10
	s_delay_alu instid0(VALU_DEP_1) | instskip(SKIP_3) | instid1(VALU_DEP_1)
	v_max3_num_f32 v0, v0, v13, v12
.Ltmp9:
	.loc	2 191 40                        ; standard.py:191:40 @[ softmax_online.py:18:27 ]
	s_barrier_wait -1
	global_inv scope:SCOPE_SE
.Ltmp10:
	.loc	2 170 27                        ; standard.py:170:27 @[ standard.py:191:40 @[ softmax_online.py:18:27 ] ]
	v_max3_num_f32 v0, v0, v15, v14
.Ltmp11:
	.loc	2 191 40                        ; standard.py:191:40 @[ softmax_online.py:18:27 ]
	v_mov_b32_dpp v1, v0 row_shr:8 row_mask:0xf bank_mask:0xf bound_ctrl:1
	s_delay_alu instid0(VALU_DEP_1) | instskip(NEXT) | instid1(VALU_DEP_1)
.Ltmp12:
	.loc	2 170 27                        ; standard.py:170:27 @[ standard.py:191:40 @[ softmax_online.py:18:27 ] ]
	v_max_num_f32_e32 v1, v1, v1
	v_max_num_f32_e32 v0, v0, v1
	s_delay_alu instid0(VALU_DEP_1) | instskip(NEXT) | instid1(VALU_DEP_1)
.Ltmp13:
	.loc	2 191 40                        ; standard.py:191:40 @[ softmax_online.py:18:27 ]
	v_mov_b32_dpp v1, v0 row_shr:4 row_mask:0xf bank_mask:0xf bound_ctrl:1
.Ltmp14:
	.loc	2 170 27                        ; standard.py:170:27 @[ standard.py:191:40 @[ softmax_online.py:18:27 ] ]
	v_max_num_f32_e32 v1, v1, v1
	s_delay_alu instid0(VALU_DEP_1) | instskip(NEXT) | instid1(VALU_DEP_1)
	v_max_num_f32_e32 v0, v0, v1
.Ltmp15:
	.loc	2 191 40                        ; standard.py:191:40 @[ softmax_online.py:18:27 ]
	v_mov_b32_dpp v1, v0 row_shr:2 row_mask:0xf bank_mask:0xf bound_ctrl:1
	s_delay_alu instid0(VALU_DEP_1) | instskip(NEXT) | instid1(VALU_DEP_1)
.Ltmp16:
	.loc	2 170 27                        ; standard.py:170:27 @[ standard.py:191:40 @[ softmax_online.py:18:27 ] ]
	v_max_num_f32_e32 v1, v1, v1
	v_max_num_f32_e32 v0, v0, v1
	s_delay_alu instid0(VALU_DEP_1) | instskip(NEXT) | instid1(VALU_DEP_1)
.Ltmp17:
	.loc	2 191 40                        ; standard.py:191:40 @[ softmax_online.py:18:27 ]
	v_mov_b32_dpp v1, v0 row_shr:1 row_mask:0xf bank_mask:0xf bound_ctrl:1
.Ltmp18:
	.loc	2 170 27                        ; standard.py:170:27 @[ standard.py:191:40 @[ softmax_online.py:18:27 ] ]
	v_max_num_f32_e32 v1, v1, v1
	s_delay_alu instid0(VALU_DEP_1) | instskip(NEXT) | instid1(VALU_DEP_1)
	v_max_num_f32_e32 v0, v0, v1
.Ltmp19:
	.loc	2 191 40                        ; standard.py:191:40 @[ softmax_online.py:18:27 ]
	v_permlanex16_b32 v1, v0, -1, -1 op_sel:[1,0]
	s_delay_alu instid0(VALU_DEP_1) | instskip(NEXT) | instid1(VALU_DEP_1)
.Ltmp20:
	.loc	2 170 27                        ; standard.py:170:27 @[ standard.py:191:40 @[ softmax_online.py:18:27 ] ]
	v_max_num_f32_e32 v1, v1, v1
	v_max_num_f32_e32 v0, v0, v1
	s_delay_alu instid0(VALU_DEP_1)
.Ltmp21:
	.loc	2 191 40                        ; standard.py:191:40 @[ softmax_online.py:18:27 ]
	v_readlane_b32 s4, v0, 31
	s_and_saveexec_b32 s3, vcc_lo
; %bb.20:                               ;   in Loop: Header=BB0_3 Depth=1
	s_wait_alu depctr_va_sdst(0)
	v_dual_mov_b32 v0, s19 :: v_dual_mov_b32 v1, s4
	ds_store_b32 v0, v1
; %bb.21:                               ;   in Loop: Header=BB0_3 Depth=1
	.loc	2 0 40 is_stmt 0                ; standard.py:0:40
	s_wait_alu depctr_sa_sdst(0)
	s_or_b32 exec_lo, exec_lo, s3
	.loc	2 191 40                        ; standard.py:191:40 @[ softmax_online.py:18:27 ]
	s_wait_loadcnt_dscnt 0x0
	s_barrier_signal -1
	v_mov_b32_e32 v0, 0
	s_barrier_wait -1
	global_inv scope:SCOPE_SE
	s_and_saveexec_b32 s3, s2
; %bb.22:                               ;   in Loop: Header=BB0_3 Depth=1
	ds_load_b32 v0, v3
; %bb.23:                               ;   in Loop: Header=BB0_3 Depth=1
	.loc	2 0 40                          ; standard.py:0:40
	s_wait_alu depctr_sa_sdst(0)
	s_or_b32 exec_lo, exec_lo, s3
.Ltmp22:
	.loc	2 170 27 is_stmt 1              ; standard.py:170:27 @[ standard.py:191:40 @[ softmax_online.py:18:27 ] ]
	s_wait_dscnt 0x0
	v_max_num_f32_e32 v1, v0, v0
.Ltmp23:
	.loc	2 191 40                        ; standard.py:191:40 @[ softmax_online.py:18:27 ]
	v_mov_b32_dpp v0, v0 quad_perm:[2,3,0,1] row_mask:0xf bank_mask:0xf
	s_delay_alu instid0(VALU_DEP_1) | instskip(NEXT) | instid1(VALU_DEP_1)
.Ltmp24:
	.loc	2 170 27                        ; standard.py:170:27 @[ standard.py:191:40 @[ softmax_online.py:18:27 ] ]
	v_max_num_f32_e32 v0, v0, v0
	v_max_num_f32_e32 v0, v1, v0
	s_delay_alu instid0(VALU_DEP_1) | instskip(NEXT) | instid1(VALU_DEP_1)
.Ltmp25:
	.loc	2 191 40                        ; standard.py:191:40 @[ softmax_online.py:18:27 ]
	v_mov_b32_e32 v1, v0
	v_mov_b32_dpp v1, v1 quad_perm:[1,0,3,2] row_mask:0xf bank_mask:0xf
	s_and_saveexec_b32 s3, s20
; %bb.24:                               ;   in Loop: Header=BB0_3 Depth=1
	.loc	2 0 40 is_stmt 0                ; standard.py:0:40
	s_delay_alu instid0(VALU_DEP_1) | instskip(NEXT) | instid1(VALU_DEP_1)
	v_dual_max_num_f32 v1, v1, v1 :: v_dual_max_num_f32 v0, v0, v0
	v_max_num_f32_e32 v0, v0, v1
	.loc	2 191 40                        ; standard.py:191:40 @[ softmax_online.py:18:27 ]
	ds_store_b32 v3, v0
; %bb.25:                               ;   in Loop: Header=BB0_3 Depth=1
	.loc	2 0 40                          ; standard.py:0:40
	s_wait_alu depctr_sa_sdst(0)
	s_or_b32 exec_lo, exec_lo, s3
	.loc	2 191 40                        ; standard.py:191:40 @[ softmax_online.py:18:27 ]
	s_wait_loadcnt_dscnt 0x0
	s_barrier_signal -1
.Ltmp26:
	.loc	1 19 30 is_stmt 1               ; softmax_online.py:19:30
	v_max_num_f32_e64 v1, s21, s21
	s_delay_alu instid0(VALU_DEP_1)
	v_readfirstlane_b32 s3, v1
.Ltmp27:
	.loc	2 191 40                        ; standard.py:191:40 @[ softmax_online.py:18:27 ]
	s_barrier_wait -1
	global_inv scope:SCOPE_SE
	ds_load_b32 v0, v4
.Ltmp28:
	.loc	1 19 30                         ; softmax_online.py:19:30
	s_wait_dscnt 0x0
	v_max_num_f32_e32 v0, v0, v0
	s_delay_alu instid0(VALU_DEP_1) | instskip(SKIP_2) | instid1(SALU_CYCLE_2)
	v_readfirstlane_b32 s4, v0
	s_max_num_f32 s16, s3, s4
	.loc	1 20 54                         ; softmax_online.py:20:54
	s_wait_alu depctr_sa_sdst(0)
	v_dual_subrev_f32 v0, s16, v9 :: v_dual_subrev_f32 v1, s16, v8
	v_subrev_f32_e32 v2, s16, v11
	v_dual_subrev_f32 v8, s16, v10 :: v_dual_subrev_f32 v11, s16, v15
	v_subrev_f32_e32 v9, s16, v13
	s_delay_alu instid0(VALU_DEP_4) | instskip(NEXT) | instid1(VALU_DEP_4)
	.loc	1 20 50 is_stmt 0               ; softmax_online.py:20:50
	v_mul_f32_e32 v13, 0x3fb8aa3b, v0
	.loc	1 20 54                         ; softmax_online.py:20:54
	v_dual_subrev_f32 v10, s16, v12 :: v_dual_mul_f32 v15, 0x3fb8aa3b, v2
	s_delay_alu instid0(VALU_DEP_3) | instskip(SKIP_1) | instid1(VALU_DEP_4)
	v_dual_subrev_f32 v12, s16, v14 :: v_dual_mul_f32 v17, 0x3fb8aa3b, v9
	.loc	1 20 50                         ; softmax_online.py:20:50
	v_dual_mul_f32 v14, 0x3fb8aa3b, v1 :: v_dual_mul_f32 v19, 0x3fb8aa3b, v11
	v_cmp_gt_f32_e64 s3, 0xc2fc0000, v13
	s_delay_alu instid0(VALU_DEP_4) | instskip(NEXT) | instid1(VALU_DEP_4)
	v_cmp_gt_f32_e64 s5, 0xc2fc0000, v15
	v_cmp_gt_f32_e64 s7, 0xc2fc0000, v17
	s_delay_alu instid0(VALU_DEP_4)
	v_cmp_gt_f32_e64 s4, 0xc2fc0000, v14
	v_cmp_gt_f32_e64 s9, 0xc2fc0000, v19
	s_wait_alu depctr_va_sdst(0)
	v_cndmask_b32_e64 v13, 0, 0x42800000, s3
	v_cndmask_b32_e64 v15, 0, 0x42800000, s5
	v_mul_f32_e32 v16, 0x3fb8aa3b, v8
	v_cndmask_b32_e64 v14, 0, 0x42800000, s4
	s_delay_alu instid0(VALU_DEP_4) | instskip(NEXT) | instid1(VALU_DEP_4)
	v_dual_mul_f32 v18, 0x3fb8aa3b, v10 :: v_dual_fmac_f32 v13, 0x3fb8aa3b, v0
	v_fmac_f32_e32 v15, 0x3fb8aa3b, v2
	s_delay_alu instid0(VALU_DEP_4) | instskip(NEXT) | instid1(VALU_DEP_4)
	v_cmp_gt_f32_e64 s6, 0xc2fc0000, v16
	v_fmac_f32_e32 v14, 0x3fb8aa3b, v1
	v_cndmask_b32_e64 v19, 0, 0xffffffc0, s5
	v_exp_f32_e32 v1, v13
	v_cndmask_b32_e64 v17, 0, 0x42800000, s7
	s_wait_alu depctr_va_sdst(0)
	v_cndmask_b32_e64 v16, 0, 0x42800000, s6
	v_exp_f32_e32 v2, v14
	v_cndmask_b32_e64 v14, 0, 0xffffffc0, s3
	v_dual_mul_f32 v20, 0x3fb8aa3b, v12 :: v_dual_fmac_f32 v17, 0x3fb8aa3b, v9
	s_delay_alu instid0(VALU_DEP_3)
	v_fmac_f32_e32 v16, 0x3fb8aa3b, v8
	v_exp_f32_e32 v8, v15
	v_cndmask_b32_e64 v15, 0, 0xffffffc0, s4
	v_ldexp_f32 v1, v1, v14
	v_cmp_gt_f32_e64 s8, 0xc2fc0000, v18
	v_cmp_gt_f32_e64 s10, 0xc2fc0000, v20
	v_cndmask_b32_e64 v0, 0, 0x42800000, s9
	v_ldexp_f32 v2, v2, v15
	v_cndmask_b32_e64 v14, 0, 0xffffffc0, s6
	s_wait_alu depctr_va_sdst(0)
	v_cndmask_b32_e64 v18, 0, 0x42800000, s8
	v_cndmask_b32_e64 v13, 0, 0x42800000, s10
	v_ldexp_f32 v8, v8, v19
.Ltmp29:
	.loc	2 263 15 is_stmt 1              ; standard.py:263:15 @[ standard.py:293:36 @[ softmax_online.py:20:43 ] ]
	v_add_f32_e32 v1, v1, v2
.Ltmp30:
	.loc	1 20 50                         ; softmax_online.py:20:50
	v_cndmask_b32_e64 v2, 0, 0xffffffc0, s7
	s_delay_alu instid0(VALU_DEP_4) | instskip(SKIP_1) | instid1(VALU_DEP_3)
	v_dual_fmac_f32 v18, 0x3fb8aa3b, v10 :: v_dual_fmac_f32 v13, 0x3fb8aa3b, v12
	v_exp_f32_e32 v10, v17
.Ltmp31:
	.loc	2 263 15                        ; standard.py:263:15 @[ standard.py:293:36 @[ softmax_online.py:20:43 ] ]
	v_add_f32_e32 v1, v8, v1
.Ltmp32:
	.loc	1 20 50                         ; softmax_online.py:20:50
	v_exp_f32_e32 v9, v16
	v_cndmask_b32_e64 v8, 0, 0xffffffc0, s8
	.loc	1 20 27 is_stmt 0               ; softmax_online.py:20:27
	s_sub_f32 s3, s21, s16
	.loc	1 20 23                         ; softmax_online.py:20:23
	s_wait_alu depctr_sa_sdst(0)
	s_delay_alu instid0(SALU_CYCLE_2) | instskip(NEXT) | instid1(TRANS32_DEP_2)
	s_mul_f32 s4, s3, 0x3fb8aa3b
	.loc	1 20 50                         ; softmax_online.py:20:50
	v_ldexp_f32 v2, v10, v2
	v_exp_f32_e32 v10, v13
	s_delay_alu instid0(TRANS32_DEP_2)
	v_ldexp_f32 v9, v9, v14
	v_fmac_f32_e32 v0, 0x3fb8aa3b, v11
	v_exp_f32_e32 v11, v18
	.loc	1 20 23                         ; softmax_online.py:20:23
	s_wait_alu depctr_sa_sdst(0)
	s_cmp_lt_f32 s4, 0xc2fc0000
.Ltmp33:
	.loc	2 263 15 is_stmt 1              ; standard.py:263:15 @[ standard.py:293:36 @[ softmax_online.py:20:43 ] ]
	v_add_f32_e32 v1, v9, v1
.Ltmp34:
	.loc	1 20 50                         ; softmax_online.py:20:50
	v_exp_f32_e32 v0, v0
	v_cndmask_b32_e64 v9, 0, 0xffffffc0, s9
	.loc	1 20 23 is_stmt 0               ; softmax_online.py:20:23
	s_cselect_b32 s4, 0x42800000, 0
	s_cselect_b32 s5, 0x1f800000, 1.0
.Ltmp35:
	.loc	2 263 15 is_stmt 1              ; standard.py:263:15 @[ standard.py:293:36 @[ softmax_online.py:20:43 ] ]
	v_add_f32_e32 v1, v2, v1
.Ltmp36:
	.loc	1 20 50                         ; softmax_online.py:20:50
	v_cndmask_b32_e64 v2, 0, 0xffffffc0, s10
	v_ldexp_f32 v8, v11, v8
	s_delay_alu instid0(TRANS32_DEP_1) | instskip(NEXT) | instid1(VALU_DEP_3)
	v_ldexp_f32 v0, v0, v9
	v_ldexp_f32 v2, v10, v2
	s_delay_alu instid0(VALU_DEP_3) | instskip(NEXT) | instid1(VALU_DEP_1)
.Ltmp37:
	.loc	2 263 15                        ; standard.py:263:15 @[ standard.py:293:36 @[ softmax_online.py:20:43 ] ]
	v_add_f32_e32 v1, v8, v1
	v_add_f32_e32 v0, v0, v1
	s_delay_alu instid0(VALU_DEP_1) | instskip(NEXT) | instid1(VALU_DEP_1)
	v_add_f32_e32 v0, v2, v0
	v_add_f32_dpp v0, v0, v0 row_shr:8 row_mask:0xf bank_mask:0xf bound_ctrl:1
	s_delay_alu instid0(VALU_DEP_1) | instskip(NEXT) | instid1(VALU_DEP_1)
	v_add_f32_dpp v0, v0, v0 row_shr:4 row_mask:0xf bank_mask:0xf bound_ctrl:1
	v_add_f32_dpp v0, v0, v0 row_shr:2 row_mask:0xf bank_mask:0xf bound_ctrl:1
	s_delay_alu instid0(VALU_DEP_1) | instskip(NEXT) | instid1(VALU_DEP_1)
	v_add_f32_dpp v0, v0, v0 row_shr:1 row_mask:0xf bank_mask:0xf bound_ctrl:1
.Ltmp38:
	.loc	2 293 36                        ; standard.py:293:36 @[ softmax_online.py:20:43 ]
	v_permlanex16_b32 v1, v0, -1, -1 op_sel:[1,0]
	s_delay_alu instid0(VALU_DEP_1) | instskip(NEXT) | instid1(VALU_DEP_1)
.Ltmp39:
	.loc	2 263 15                        ; standard.py:263:15 @[ standard.py:293:36 @[ softmax_online.py:20:43 ] ]
	v_add_f32_e32 v0, v0, v1
.Ltmp40:
	.loc	2 293 36                        ; standard.py:293:36 @[ softmax_online.py:20:43 ]
	v_readlane_b32 s6, v0, 31
	s_wait_loadcnt 0x0
	s_barrier_signal -1
	s_barrier_wait -1
	global_inv scope:SCOPE_SE
	s_and_saveexec_b32 s7, vcc_lo
; %bb.26:                               ;   in Loop: Header=BB0_3 Depth=1
	s_wait_alu depctr_va_sdst(0)
	v_dual_mov_b32 v0, s19 :: v_dual_mov_b32 v1, s6
	ds_store_b32 v0, v1
; %bb.27:                               ;   in Loop: Header=BB0_3 Depth=1
	.loc	2 0 36 is_stmt 0                ; standard.py:0:36
	s_wait_alu depctr_sa_sdst(0)
	s_or_b32 exec_lo, exec_lo, s7
	.loc	2 293 36                        ; standard.py:293:36 @[ softmax_online.py:20:43 ]
	s_wait_loadcnt_dscnt 0x0
	s_barrier_signal -1
	v_mov_b32_e32 v0, 0
	s_barrier_wait -1
	global_inv scope:SCOPE_SE
	s_and_saveexec_b32 s6, s2
; %bb.28:                               ;   in Loop: Header=BB0_3 Depth=1
	ds_load_b32 v0, v3
; %bb.29:                               ;   in Loop: Header=BB0_3 Depth=1
	.loc	2 0 36                          ; standard.py:0:36
	s_wait_alu depctr_sa_sdst(0)
	s_or_b32 exec_lo, exec_lo, s6
	.loc	2 293 36                        ; standard.py:293:36 @[ softmax_online.py:20:43 ]
	s_wait_dscnt 0x0
	v_mov_b32_e32 v1, v0
	s_delay_alu instid0(VALU_DEP_1) | instskip(NEXT) | instid1(VALU_DEP_1)
	v_mov_b32_dpp v1, v1 quad_perm:[2,3,0,1] row_mask:0xf bank_mask:0xf
.Ltmp41:
	.loc	2 263 15 is_stmt 1              ; standard.py:263:15 @[ standard.py:293:36 @[ softmax_online.py:20:43 ] ]
	v_add_f32_e32 v0, v0, v1
	s_delay_alu instid0(VALU_DEP_1) | instskip(NEXT) | instid1(VALU_DEP_1)
.Ltmp42:
	.loc	2 293 36                        ; standard.py:293:36 @[ softmax_online.py:20:43 ]
	v_mov_b32_e32 v1, v0
	v_mov_b32_dpp v1, v1 quad_perm:[1,0,3,2] row_mask:0xf bank_mask:0xf
	s_and_saveexec_b32 s6, s20
	s_cbranch_execz .LBB0_2
; %bb.30:                               ;   in Loop: Header=BB0_3 Depth=1
	.loc	2 0 36 is_stmt 0                ; standard.py:0:36
	s_delay_alu instid0(VALU_DEP_1)
	v_add_f32_e32 v0, v0, v1
	.loc	2 293 36                        ; standard.py:293:36 @[ softmax_online.py:20:43 ]
	ds_store_b32 v3, v0
	s_branch .LBB0_2
.Ltmp43:
.LBB0_31:
	.loc	2 0 36                          ; standard.py:0:36
	v_mov_b32_e32 v8, 0
	s_mov_b32 s16, 0xff800000
.LBB0_32:                               ; %Flow25
	s_load_b64 s[0:1], s[0:1], 0x0
	.loc	1 22 32 is_stmt 1               ; softmax_online.py:22:32
	s_and_not1_b32 vcc_lo, exec_lo, s17
	s_cbranch_vccnz .LBB0_67
; %bb.33:                               ; %.lr.ph5.preheader
	.loc	1 12 18                         ; softmax_online.py:12:18
	s_wait_kmcnt 0x0
	s_add_nc_u64 s[8:9], s[0:1], s[14:15]
	s_mov_b32 s7, 0
	s_branch .LBB0_35
.LBB0_34:                               ;   in Loop: Header=BB0_35 Depth=1
	.loc	1 0 18 is_stmt 0                ; softmax_online.py:0:18
	s_wait_alu depctr_sa_sdst(0)
	s_or_b32 exec_lo, exec_lo, s1
	.loc	1 22 32 is_stmt 1               ; softmax_online.py:22:32
	s_addk_co_i32 s7, 0x400
	s_wait_alu depctr_sa_sdst(0)
	s_cmp_lt_i32 s7, s11
	s_cbranch_scc0 .LBB0_67
.LBB0_35:                               ; %.lr.ph5
                                        ; =>This Inner Loop Header: Depth=1
	.loc	1 0 32 is_stmt 0                ; softmax_online.py:0:32
	s_wait_alu depctr_sa_sdst(0)
	v_dual_mov_b32 v1, 0xff800000 :: v_dual_add_nc_u32 v0, s7, v7
	v_mov_b32_e32 v14, 0xff800000
	s_delay_alu instid0(VALU_DEP_2)
	.loc	1 24 22 is_stmt 1               ; softmax_online.py:24:22
	v_cmp_gt_i32_e32 vcc_lo, s11, v0
	.loc	1 25 20                         ; softmax_online.py:25:20
	s_and_saveexec_b32 s1, vcc_lo
	s_cbranch_execz .LBB0_37
; %bb.36:                               ;   in Loop: Header=BB0_35 Depth=1
	.loc	1 0 20 is_stmt 0                ; softmax_online.py:0:20
	v_ashrrev_i32_e32 v1, 31, v0
	s_delay_alu instid0(VALU_DEP_1) | instskip(NEXT) | instid1(VALU_DEP_1)
	v_lshlrev_b64_e32 v[1:2], 2, v[0:1]
	v_add_co_u32 v1, s0, s12, v1
	s_wait_alu depctr_va_sdst(0)
	s_delay_alu instid0(VALU_DEP_2)
	v_add_co_ci_u32_e64 v2, null, s13, v2, s0
	.loc	1 25 20                         ; softmax_online.py:25:20
	global_load_b32 v1, v[1:2], off
.LBB0_37:                               ;   in Loop: Header=BB0_35 Depth=1
	.loc	1 0 20                          ; softmax_online.py:0:20
	s_wait_alu depctr_sa_sdst(0)
	s_or_b32 exec_lo, exec_lo, s1
	.loc	1 25 32                         ; softmax_online.py:25:32
	s_ashr_i32 s0, s7, 31
	v_add_co_u32 v2, s1, s7, v6
	s_wait_alu depctr_sa_sdst(0) depctr_va_sdst(0)
	v_add_co_ci_u32_e64 v3, null, s0, 0, s1
	.loc	1 23 21 is_stmt 1               ; softmax_online.py:23:21
	v_add_nc_u32_e32 v4, 0x80, v0
	s_delay_alu instid0(VALU_DEP_2) | instskip(NEXT) | instid1(VALU_DEP_2)
	.loc	1 25 32                         ; softmax_online.py:25:32
	v_lshlrev_b64_e32 v[2:3], 2, v[2:3]
	.loc	1 24 22                         ; softmax_online.py:24:22
	v_cmp_gt_i32_e64 s6, s11, v4
	s_delay_alu instid0(VALU_DEP_2) | instskip(SKIP_1) | instid1(VALU_DEP_3)
	.loc	1 25 32                         ; softmax_online.py:25:32
	v_add_co_u32 v4, s0, s12, v2
	s_wait_alu depctr_va_sdst(0)
	v_add_co_ci_u32_e64 v5, null, s13, v3, s0
	.loc	1 25 20 is_stmt 0               ; softmax_online.py:25:20
	s_and_saveexec_b32 s0, s6
	s_cbranch_execz .LBB0_39
; %bb.38:                               ;   in Loop: Header=BB0_35 Depth=1
	global_load_b32 v14, v[4:5], off offset:512
.LBB0_39:                               ;   in Loop: Header=BB0_35 Depth=1
	.loc	1 0 20                          ; softmax_online.py:0:20
	s_wait_alu depctr_sa_sdst(0)
	s_or_b32 exec_lo, exec_lo, s0
	.loc	1 23 21 is_stmt 1               ; softmax_online.py:23:21
	v_add_nc_u32_e32 v9, 0x100, v0
	v_dual_mov_b32 v12, 0xff800000 :: v_dual_mov_b32 v15, 0xff800000
	s_delay_alu instid0(VALU_DEP_2)
	.loc	1 24 22                         ; softmax_online.py:24:22
	v_cmp_gt_i32_e64 s5, s11, v9
	.loc	1 25 20                         ; softmax_online.py:25:20
	s_and_saveexec_b32 s0, s5
	s_cbranch_execz .LBB0_41
; %bb.40:                               ;   in Loop: Header=BB0_35 Depth=1
	global_load_b32 v15, v[4:5], off offset:1024
.LBB0_41:                               ;   in Loop: Header=BB0_35 Depth=1
	.loc	1 0 20 is_stmt 0                ; softmax_online.py:0:20
	s_wait_alu depctr_sa_sdst(0)
	s_or_b32 exec_lo, exec_lo, s0
	.loc	1 23 21 is_stmt 1               ; softmax_online.py:23:21
	v_add_nc_u32_e32 v9, 0x180, v0
	s_delay_alu instid0(VALU_DEP_1)
	.loc	1 24 22                         ; softmax_online.py:24:22
	v_cmp_gt_i32_e64 s4, s11, v9
	.loc	1 25 20                         ; softmax_online.py:25:20
	s_and_saveexec_b32 s0, s4
	s_cbranch_execz .LBB0_43
; %bb.42:                               ;   in Loop: Header=BB0_35 Depth=1
	global_load_b32 v12, v[4:5], off offset:1536
.LBB0_43:                               ;   in Loop: Header=BB0_35 Depth=1
	.loc	1 0 20 is_stmt 0                ; softmax_online.py:0:20
	s_wait_alu depctr_sa_sdst(0)
	s_or_b32 exec_lo, exec_lo, s0
	.loc	1 23 21 is_stmt 1               ; softmax_online.py:23:21
	v_add_nc_u32_e32 v9, 0x200, v0
	v_dual_mov_b32 v10, 0xff800000 :: v_dual_mov_b32 v13, 0xff800000
	s_delay_alu instid0(VALU_DEP_2)
	.loc	1 24 22                         ; softmax_online.py:24:22
	v_cmp_gt_i32_e64 s3, s11, v9
	.loc	1 25 20                         ; softmax_online.py:25:20
	s_and_saveexec_b32 s0, s3
	s_cbranch_execz .LBB0_45
; %bb.44:                               ;   in Loop: Header=BB0_35 Depth=1
	global_load_b32 v13, v[4:5], off offset:2048
.LBB0_45:                               ;   in Loop: Header=BB0_35 Depth=1
	.loc	1 0 20 is_stmt 0                ; softmax_online.py:0:20
	s_wait_alu depctr_sa_sdst(0)
	s_or_b32 exec_lo, exec_lo, s0
	.loc	1 23 21 is_stmt 1               ; softmax_online.py:23:21
	v_add_nc_u32_e32 v9, 0x280, v0
	s_delay_alu instid0(VALU_DEP_1)
	.loc	1 24 22                         ; softmax_online.py:24:22
	v_cmp_gt_i32_e64 s2, s11, v9
	.loc	1 25 20                         ; softmax_online.py:25:20
	s_and_saveexec_b32 s0, s2
	s_cbranch_execz .LBB0_47
; %bb.46:                               ;   in Loop: Header=BB0_35 Depth=1
	global_load_b32 v10, v[4:5], off offset:2560
.LBB0_47:                               ;   in Loop: Header=BB0_35 Depth=1
	.loc	1 0 20 is_stmt 0                ; softmax_online.py:0:20
	s_wait_alu depctr_sa_sdst(0)
	s_or_b32 exec_lo, exec_lo, s0
	.loc	1 23 21 is_stmt 1               ; softmax_online.py:23:21
	v_add_nc_u32_e32 v11, 0x300, v0
	v_mov_b32_e32 v9, 0xff800000
	s_delay_alu instid0(VALU_DEP_2)
	.loc	1 24 22                         ; softmax_online.py:24:22
	v_cmp_gt_i32_e64 s1, s11, v11
	v_mov_b32_e32 v11, 0xff800000
	.loc	1 25 20                         ; softmax_online.py:25:20
	s_and_saveexec_b32 s0, s1
	s_cbranch_execz .LBB0_49
; %bb.48:                               ;   in Loop: Header=BB0_35 Depth=1
	global_load_b32 v11, v[4:5], off offset:3072
.LBB0_49:                               ;   in Loop: Header=BB0_35 Depth=1
	.loc	1 0 20 is_stmt 0                ; softmax_online.py:0:20
	s_wait_alu depctr_sa_sdst(0)
	s_or_b32 exec_lo, exec_lo, s0
	.loc	1 24 22 is_stmt 1               ; softmax_online.py:24:22
	v_add_nc_u32_e32 v16, 0x380, v0
	s_delay_alu instid0(VALU_DEP_1)
	v_cmp_gt_i32_e64 s0, s11, v16
	.loc	1 25 20                         ; softmax_online.py:25:20
	s_and_saveexec_b32 s10, s0
	s_cbranch_execz .LBB0_51
; %bb.50:                               ;   in Loop: Header=BB0_35 Depth=1
	global_load_b32 v9, v[4:5], off offset:3584
.LBB0_51:                               ;   in Loop: Header=BB0_35 Depth=1
	.loc	1 0 20 is_stmt 0                ; softmax_online.py:0:20
	s_wait_alu depctr_sa_sdst(0)
	s_or_b32 exec_lo, exec_lo, s10
	.loc	1 27 36 is_stmt 1               ; softmax_online.py:27:36
	s_and_saveexec_b32 s10, vcc_lo
	s_cbranch_execz .LBB0_53
; %bb.52:                               ;   in Loop: Header=BB0_35 Depth=1
	.loc	1 26 23                         ; softmax_online.py:26:23
	s_wait_loadcnt 0x0
	v_subrev_f32_e32 v1, s16, v1
	s_delay_alu instid0(VALU_DEP_1) | instskip(NEXT) | instid1(VALU_DEP_1)
	.loc	1 26 19 is_stmt 0               ; softmax_online.py:26:19
	v_mul_f32_e32 v4, 0x3fb8aa3b, v1
	v_cmp_gt_f32_e32 vcc_lo, 0xc2fc0000, v4
	s_wait_alu depctr_va_vcc(0)
	v_cndmask_b32_e64 v4, 0, 0x42800000, vcc_lo
	s_delay_alu instid0(VALU_DEP_1) | instskip(NEXT) | instid1(VALU_DEP_1)
	v_fmac_f32_e32 v4, 0x3fb8aa3b, v1
	v_exp_f32_e32 v1, v4
	v_cndmask_b32_e64 v4, 0, 0xffffffc0, vcc_lo
	s_delay_alu instid0(TRANS32_DEP_1) | instid1(VALU_DEP_1)
	v_ldexp_f32 v4, v1, v4
	s_delay_alu instid0(VALU_DEP_1) | instskip(SKIP_1) | instid1(VALU_DEP_2)
	.loc	1 26 28                         ; softmax_online.py:26:28
	v_div_scale_f32 v1, null, v8, v8, v4
	v_div_scale_f32 v17, vcc_lo, v4, v8, v4
	v_rcp_f32_e32 v5, v1
	s_delay_alu instid0(TRANS32_DEP_1) | instskip(NEXT) | instid1(VALU_DEP_1)
	v_fma_f32 v16, -v1, v5, 1.0
	v_fmac_f32_e32 v5, v16, v5
	s_delay_alu instid0(VALU_DEP_1) | instskip(NEXT) | instid1(VALU_DEP_1)
	v_mul_f32_e32 v16, v17, v5
	v_fma_f32 v18, -v1, v16, v17
	s_delay_alu instid0(VALU_DEP_1) | instskip(NEXT) | instid1(VALU_DEP_1)
	v_fmac_f32_e32 v16, v18, v5
	v_fma_f32 v17, -v1, v16, v17
	.loc	1 27 30 is_stmt 1               ; softmax_online.py:27:30
	v_ashrrev_i32_e32 v1, 31, v0
	.loc	1 26 28                         ; softmax_online.py:26:28
	s_wait_alu depctr_va_vcc(0)
	s_delay_alu instid0(VALU_DEP_2) | instskip(NEXT) | instid1(VALU_DEP_2)
	v_div_fmas_f32 v5, v17, v5, v16
	.loc	1 27 30                         ; softmax_online.py:27:30
	v_lshlrev_b64_e32 v[0:1], 2, v[0:1]
	s_delay_alu instid0(VALU_DEP_2) | instskip(NEXT) | instid1(VALU_DEP_2)
	.loc	1 26 28                         ; softmax_online.py:26:28
	v_div_fixup_f32 v4, v5, v8, v4
	.loc	1 27 30                         ; softmax_online.py:27:30
	v_add_co_u32 v0, vcc_lo, s8, v0
	s_wait_alu depctr_va_vcc(0)
	s_delay_alu instid0(VALU_DEP_3)
	v_add_co_ci_u32_e64 v1, null, s9, v1, vcc_lo
	.loc	1 27 36 is_stmt 0               ; softmax_online.py:27:36
	global_store_b32 v[0:1], v4, off
.LBB0_53:                               ;   in Loop: Header=BB0_35 Depth=1
	.loc	1 0 36                          ; softmax_online.py:0:36
	s_wait_alu depctr_sa_sdst(0)
	s_or_b32 exec_lo, exec_lo, s10
	.loc	1 27 30                         ; softmax_online.py:27:30
	v_add_co_u32 v0, vcc_lo, s8, v2
	s_wait_loadcnt 0x0
	s_wait_alu depctr_va_vcc(0)
	v_add_co_ci_u32_e64 v1, null, s9, v3, vcc_lo
	.loc	1 27 36                         ; softmax_online.py:27:36
	s_and_saveexec_b32 s10, s6
	s_cbranch_execnz .LBB0_60
; %bb.54:                               ;   in Loop: Header=BB0_35 Depth=1
	.loc	1 0 36                          ; softmax_online.py:0:36
	s_wait_alu depctr_sa_sdst(0)
	s_or_b32 exec_lo, exec_lo, s10
	.loc	1 27 36                         ; softmax_online.py:27:36
	s_and_saveexec_b32 s6, s5
	s_cbranch_execnz .LBB0_61
.LBB0_55:                               ;   in Loop: Header=BB0_35 Depth=1
	.loc	1 0 36                          ; softmax_online.py:0:36
	s_wait_alu depctr_sa_sdst(0)
	s_or_b32 exec_lo, exec_lo, s6
	.loc	1 27 36                         ; softmax_online.py:27:36
	s_and_saveexec_b32 s5, s4
	s_cbranch_execnz .LBB0_62
.LBB0_56:                               ;   in Loop: Header=BB0_35 Depth=1
	.loc	1 0 36                          ; softmax_online.py:0:36
	s_wait_alu depctr_sa_sdst(0)
	s_or_b32 exec_lo, exec_lo, s5
	.loc	1 27 36                         ; softmax_online.py:27:36
	s_and_saveexec_b32 s4, s3
	s_cbranch_execnz .LBB0_63
.LBB0_57:                               ;   in Loop: Header=BB0_35 Depth=1
	.loc	1 0 36                          ; softmax_online.py:0:36
	s_wait_alu depctr_sa_sdst(0)
	s_or_b32 exec_lo, exec_lo, s4
	.loc	1 27 36                         ; softmax_online.py:27:36
	s_and_saveexec_b32 s3, s2
	s_cbranch_execnz .LBB0_64
.LBB0_58:                               ;   in Loop: Header=BB0_35 Depth=1
	.loc	1 0 36                          ; softmax_online.py:0:36
	s_wait_alu depctr_sa_sdst(0)
	s_or_b32 exec_lo, exec_lo, s3
	.loc	1 27 36                         ; softmax_online.py:27:36
	s_and_saveexec_b32 s2, s1
	s_cbranch_execnz .LBB0_65
.LBB0_59:                               ;   in Loop: Header=BB0_35 Depth=1
	.loc	1 0 36                          ; softmax_online.py:0:36
	s_wait_alu depctr_sa_sdst(0)
	s_or_b32 exec_lo, exec_lo, s2
	.loc	1 27 36                         ; softmax_online.py:27:36
	s_and_saveexec_b32 s1, s0
	s_cbranch_execz .LBB0_34
	s_branch .LBB0_66
.LBB0_60:                               ;   in Loop: Header=BB0_35 Depth=1
	.loc	1 26 23 is_stmt 1               ; softmax_online.py:26:23
	v_subrev_f32_e32 v2, s16, v14
	s_delay_alu instid0(VALU_DEP_1) | instskip(NEXT) | instid1(VALU_DEP_1)
	.loc	1 26 19 is_stmt 0               ; softmax_online.py:26:19
	v_mul_f32_e32 v3, 0x3fb8aa3b, v2
	v_cmp_gt_f32_e32 vcc_lo, 0xc2fc0000, v3
	s_wait_alu depctr_va_vcc(0)
	v_cndmask_b32_e64 v3, 0, 0x42800000, vcc_lo
	s_delay_alu instid0(VALU_DEP_1) | instskip(NEXT) | instid1(VALU_DEP_1)
	v_fmac_f32_e32 v3, 0x3fb8aa3b, v2
	v_exp_f32_e32 v2, v3
	v_cndmask_b32_e64 v3, 0, 0xffffffc0, vcc_lo
	s_delay_alu instid0(TRANS32_DEP_1) | instid1(VALU_DEP_1)
	v_ldexp_f32 v2, v2, v3
	s_delay_alu instid0(VALU_DEP_1) | instskip(NEXT) | instid1(VALU_DEP_1)
	.loc	1 26 28                         ; softmax_online.py:26:28
	v_div_scale_f32 v3, null, v8, v8, v2
	v_rcp_f32_e32 v4, v3
	s_delay_alu instid0(TRANS32_DEP_1) | instskip(NEXT) | instid1(VALU_DEP_1)
	v_fma_f32 v5, -v3, v4, 1.0
	v_fmac_f32_e32 v4, v5, v4
	v_div_scale_f32 v5, vcc_lo, v2, v8, v2
	s_delay_alu instid0(VALU_DEP_1) | instskip(NEXT) | instid1(VALU_DEP_1)
	v_mul_f32_e32 v14, v5, v4
	v_fma_f32 v16, -v3, v14, v5
	s_delay_alu instid0(VALU_DEP_1) | instskip(NEXT) | instid1(VALU_DEP_1)
	v_fmac_f32_e32 v14, v16, v4
	v_fma_f32 v3, -v3, v14, v5
	s_wait_alu depctr_va_vcc(0)
	s_delay_alu instid0(VALU_DEP_1) | instskip(NEXT) | instid1(VALU_DEP_1)
	v_div_fmas_f32 v3, v3, v4, v14
	v_div_fixup_f32 v2, v3, v8, v2
	.loc	1 27 36 is_stmt 1               ; softmax_online.py:27:36
	global_store_b32 v[0:1], v2, off offset:512
	s_wait_alu depctr_sa_sdst(0)
	s_or_b32 exec_lo, exec_lo, s10
	s_and_saveexec_b32 s6, s5
	s_cbranch_execz .LBB0_55
.LBB0_61:                               ;   in Loop: Header=BB0_35 Depth=1
	.loc	1 26 23                         ; softmax_online.py:26:23
	v_subrev_f32_e32 v2, s16, v15
	s_delay_alu instid0(VALU_DEP_1) | instskip(NEXT) | instid1(VALU_DEP_1)
	.loc	1 26 19 is_stmt 0               ; softmax_online.py:26:19
	v_mul_f32_e32 v3, 0x3fb8aa3b, v2
	v_cmp_gt_f32_e32 vcc_lo, 0xc2fc0000, v3
	s_wait_alu depctr_va_vcc(0)
	v_cndmask_b32_e64 v3, 0, 0x42800000, vcc_lo
	s_delay_alu instid0(VALU_DEP_1) | instskip(NEXT) | instid1(VALU_DEP_1)
	v_fmac_f32_e32 v3, 0x3fb8aa3b, v2
	v_exp_f32_e32 v2, v3
	v_cndmask_b32_e64 v3, 0, 0xffffffc0, vcc_lo
	s_delay_alu instid0(TRANS32_DEP_1) | instid1(VALU_DEP_1)
	v_ldexp_f32 v2, v2, v3
	s_delay_alu instid0(VALU_DEP_1) | instskip(NEXT) | instid1(VALU_DEP_1)
	.loc	1 26 28                         ; softmax_online.py:26:28
	v_div_scale_f32 v3, null, v8, v8, v2
	v_rcp_f32_e32 v4, v3
	s_delay_alu instid0(TRANS32_DEP_1) | instskip(NEXT) | instid1(VALU_DEP_1)
	v_fma_f32 v5, -v3, v4, 1.0
	v_fmac_f32_e32 v4, v5, v4
	v_div_scale_f32 v5, vcc_lo, v2, v8, v2
	s_delay_alu instid0(VALU_DEP_1) | instskip(NEXT) | instid1(VALU_DEP_1)
	v_mul_f32_e32 v14, v5, v4
	v_fma_f32 v15, -v3, v14, v5
	s_delay_alu instid0(VALU_DEP_1) | instskip(NEXT) | instid1(VALU_DEP_1)
	v_fmac_f32_e32 v14, v15, v4
	v_fma_f32 v3, -v3, v14, v5
	s_wait_alu depctr_va_vcc(0)
	s_delay_alu instid0(VALU_DEP_1) | instskip(NEXT) | instid1(VALU_DEP_1)
	v_div_fmas_f32 v3, v3, v4, v14
	v_div_fixup_f32 v2, v3, v8, v2
	.loc	1 27 36 is_stmt 1               ; softmax_online.py:27:36
	global_store_b32 v[0:1], v2, off offset:1024
	s_wait_alu depctr_sa_sdst(0)
	s_or_b32 exec_lo, exec_lo, s6
	s_and_saveexec_b32 s5, s4
	s_cbranch_execz .LBB0_56
.LBB0_62:                               ;   in Loop: Header=BB0_35 Depth=1
	.loc	1 26 23                         ; softmax_online.py:26:23
	v_subrev_f32_e32 v2, s16, v12
	s_delay_alu instid0(VALU_DEP_1) | instskip(NEXT) | instid1(VALU_DEP_1)
	.loc	1 26 19 is_stmt 0               ; softmax_online.py:26:19
	v_mul_f32_e32 v3, 0x3fb8aa3b, v2
	v_cmp_gt_f32_e32 vcc_lo, 0xc2fc0000, v3
	s_wait_alu depctr_va_vcc(0)
	v_cndmask_b32_e64 v3, 0, 0x42800000, vcc_lo
	s_delay_alu instid0(VALU_DEP_1) | instskip(NEXT) | instid1(VALU_DEP_1)
	v_fmac_f32_e32 v3, 0x3fb8aa3b, v2
	v_exp_f32_e32 v2, v3
	v_cndmask_b32_e64 v3, 0, 0xffffffc0, vcc_lo
	s_delay_alu instid0(TRANS32_DEP_1) | instid1(VALU_DEP_1)
	v_ldexp_f32 v2, v2, v3
	s_delay_alu instid0(VALU_DEP_1) | instskip(NEXT) | instid1(VALU_DEP_1)
	.loc	1 26 28                         ; softmax_online.py:26:28
	v_div_scale_f32 v3, null, v8, v8, v2
	v_rcp_f32_e32 v4, v3
	s_delay_alu instid0(TRANS32_DEP_1) | instskip(NEXT) | instid1(VALU_DEP_1)
	v_fma_f32 v5, -v3, v4, 1.0
	v_fmac_f32_e32 v4, v5, v4
	v_div_scale_f32 v5, vcc_lo, v2, v8, v2
	s_delay_alu instid0(VALU_DEP_1) | instskip(NEXT) | instid1(VALU_DEP_1)
	v_mul_f32_e32 v12, v5, v4
	v_fma_f32 v14, -v3, v12, v5
	s_delay_alu instid0(VALU_DEP_1) | instskip(NEXT) | instid1(VALU_DEP_1)
	v_fmac_f32_e32 v12, v14, v4
	v_fma_f32 v3, -v3, v12, v5
	s_wait_alu depctr_va_vcc(0)
	s_delay_alu instid0(VALU_DEP_1) | instskip(NEXT) | instid1(VALU_DEP_1)
	v_div_fmas_f32 v3, v3, v4, v12
	v_div_fixup_f32 v2, v3, v8, v2
	.loc	1 27 36 is_stmt 1               ; softmax_online.py:27:36
	global_store_b32 v[0:1], v2, off offset:1536
	s_wait_alu depctr_sa_sdst(0)
	s_or_b32 exec_lo, exec_lo, s5
	s_and_saveexec_b32 s4, s3
	s_cbranch_execz .LBB0_57
.LBB0_63:                               ;   in Loop: Header=BB0_35 Depth=1
	.loc	1 26 23                         ; softmax_online.py:26:23
	v_subrev_f32_e32 v2, s16, v13
	s_delay_alu instid0(VALU_DEP_1) | instskip(NEXT) | instid1(VALU_DEP_1)
	.loc	1 26 19 is_stmt 0               ; softmax_online.py:26:19
	v_mul_f32_e32 v3, 0x3fb8aa3b, v2
	v_cmp_gt_f32_e32 vcc_lo, 0xc2fc0000, v3
	s_wait_alu depctr_va_vcc(0)
	v_cndmask_b32_e64 v3, 0, 0x42800000, vcc_lo
	s_delay_alu instid0(VALU_DEP_1) | instskip(NEXT) | instid1(VALU_DEP_1)
	v_fmac_f32_e32 v3, 0x3fb8aa3b, v2
	v_exp_f32_e32 v2, v3
	v_cndmask_b32_e64 v3, 0, 0xffffffc0, vcc_lo
	s_delay_alu instid0(TRANS32_DEP_1) | instid1(VALU_DEP_1)
	v_ldexp_f32 v2, v2, v3
	s_delay_alu instid0(VALU_DEP_1) | instskip(NEXT) | instid1(VALU_DEP_1)
	.loc	1 26 28                         ; softmax_online.py:26:28
	v_div_scale_f32 v3, null, v8, v8, v2
	v_rcp_f32_e32 v4, v3
	s_delay_alu instid0(TRANS32_DEP_1) | instskip(NEXT) | instid1(VALU_DEP_1)
	v_fma_f32 v5, -v3, v4, 1.0
	v_fmac_f32_e32 v4, v5, v4
	v_div_scale_f32 v5, vcc_lo, v2, v8, v2
	s_delay_alu instid0(VALU_DEP_1) | instskip(NEXT) | instid1(VALU_DEP_1)
	v_mul_f32_e32 v12, v5, v4
	v_fma_f32 v13, -v3, v12, v5
	s_delay_alu instid0(VALU_DEP_1) | instskip(NEXT) | instid1(VALU_DEP_1)
	v_fmac_f32_e32 v12, v13, v4
	v_fma_f32 v3, -v3, v12, v5
	s_wait_alu depctr_va_vcc(0)
	s_delay_alu instid0(VALU_DEP_1) | instskip(NEXT) | instid1(VALU_DEP_1)
	v_div_fmas_f32 v3, v3, v4, v12
	v_div_fixup_f32 v2, v3, v8, v2
	.loc	1 27 36 is_stmt 1               ; softmax_online.py:27:36
	global_store_b32 v[0:1], v2, off offset:2048
	s_wait_alu depctr_sa_sdst(0)
	s_or_b32 exec_lo, exec_lo, s4
	s_and_saveexec_b32 s3, s2
	s_cbranch_execz .LBB0_58
.LBB0_64:                               ;   in Loop: Header=BB0_35 Depth=1
	.loc	1 26 23                         ; softmax_online.py:26:23
	v_subrev_f32_e32 v2, s16, v10
	s_delay_alu instid0(VALU_DEP_1) | instskip(NEXT) | instid1(VALU_DEP_1)
	.loc	1 26 19 is_stmt 0               ; softmax_online.py:26:19
	v_mul_f32_e32 v3, 0x3fb8aa3b, v2
	v_cmp_gt_f32_e32 vcc_lo, 0xc2fc0000, v3
	s_wait_alu depctr_va_vcc(0)
	v_cndmask_b32_e64 v3, 0, 0x42800000, vcc_lo
	s_delay_alu instid0(VALU_DEP_1) | instskip(NEXT) | instid1(VALU_DEP_1)
	v_fmac_f32_e32 v3, 0x3fb8aa3b, v2
	v_exp_f32_e32 v2, v3
	v_cndmask_b32_e64 v3, 0, 0xffffffc0, vcc_lo
	s_delay_alu instid0(TRANS32_DEP_1) | instid1(VALU_DEP_1)
	v_ldexp_f32 v2, v2, v3
	s_delay_alu instid0(VALU_DEP_1) | instskip(NEXT) | instid1(VALU_DEP_1)
	.loc	1 26 28                         ; softmax_online.py:26:28
	v_div_scale_f32 v3, null, v8, v8, v2
	v_rcp_f32_e32 v4, v3
	s_delay_alu instid0(TRANS32_DEP_1) | instskip(NEXT) | instid1(VALU_DEP_1)
	v_fma_f32 v5, -v3, v4, 1.0
	v_fmac_f32_e32 v4, v5, v4
	v_div_scale_f32 v5, vcc_lo, v2, v8, v2
	s_delay_alu instid0(VALU_DEP_1) | instskip(NEXT) | instid1(VALU_DEP_1)
	v_mul_f32_e32 v10, v5, v4
	v_fma_f32 v12, -v3, v10, v5
	s_delay_alu instid0(VALU_DEP_1) | instskip(NEXT) | instid1(VALU_DEP_1)
	v_fmac_f32_e32 v10, v12, v4
	v_fma_f32 v3, -v3, v10, v5
	s_wait_alu depctr_va_vcc(0)
	s_delay_alu instid0(VALU_DEP_1) | instskip(NEXT) | instid1(VALU_DEP_1)
	v_div_fmas_f32 v3, v3, v4, v10
	v_div_fixup_f32 v2, v3, v8, v2
	.loc	1 27 36 is_stmt 1               ; softmax_online.py:27:36
	global_store_b32 v[0:1], v2, off offset:2560
	s_wait_alu depctr_sa_sdst(0)
	s_or_b32 exec_lo, exec_lo, s3
	s_and_saveexec_b32 s2, s1
	s_cbranch_execz .LBB0_59
.LBB0_65:                               ;   in Loop: Header=BB0_35 Depth=1
	.loc	1 26 23                         ; softmax_online.py:26:23
	v_subrev_f32_e32 v2, s16, v11
	s_delay_alu instid0(VALU_DEP_1) | instskip(NEXT) | instid1(VALU_DEP_1)
	.loc	1 26 19 is_stmt 0               ; softmax_online.py:26:19
	v_mul_f32_e32 v3, 0x3fb8aa3b, v2
	v_cmp_gt_f32_e32 vcc_lo, 0xc2fc0000, v3
	s_wait_alu depctr_va_vcc(0)
	v_cndmask_b32_e64 v3, 0, 0x42800000, vcc_lo
	s_delay_alu instid0(VALU_DEP_1) | instskip(NEXT) | instid1(VALU_DEP_1)
	v_fmac_f32_e32 v3, 0x3fb8aa3b, v2
	v_exp_f32_e32 v2, v3
	v_cndmask_b32_e64 v3, 0, 0xffffffc0, vcc_lo
	s_delay_alu instid0(TRANS32_DEP_1) | instid1(VALU_DEP_1)
	v_ldexp_f32 v2, v2, v3
	s_delay_alu instid0(VALU_DEP_1) | instskip(NEXT) | instid1(VALU_DEP_1)
	.loc	1 26 28                         ; softmax_online.py:26:28
	v_div_scale_f32 v3, null, v8, v8, v2
	v_rcp_f32_e32 v4, v3
	s_delay_alu instid0(TRANS32_DEP_1) | instskip(NEXT) | instid1(VALU_DEP_1)
	v_fma_f32 v5, -v3, v4, 1.0
	v_fmac_f32_e32 v4, v5, v4
	v_div_scale_f32 v5, vcc_lo, v2, v8, v2
	s_delay_alu instid0(VALU_DEP_1) | instskip(NEXT) | instid1(VALU_DEP_1)
	v_mul_f32_e32 v10, v5, v4
	v_fma_f32 v11, -v3, v10, v5
	s_delay_alu instid0(VALU_DEP_1) | instskip(NEXT) | instid1(VALU_DEP_1)
	v_fmac_f32_e32 v10, v11, v4
	v_fma_f32 v3, -v3, v10, v5
	s_wait_alu depctr_va_vcc(0)
	s_delay_alu instid0(VALU_DEP_1) | instskip(NEXT) | instid1(VALU_DEP_1)
	v_div_fmas_f32 v3, v3, v4, v10
	v_div_fixup_f32 v2, v3, v8, v2
	.loc	1 27 36 is_stmt 1               ; softmax_online.py:27:36
	global_store_b32 v[0:1], v2, off offset:3072
	s_wait_alu depctr_sa_sdst(0)
	s_or_b32 exec_lo, exec_lo, s2
	s_and_saveexec_b32 s1, s0
	s_cbranch_execz .LBB0_34
.LBB0_66:                               ;   in Loop: Header=BB0_35 Depth=1
	.loc	1 26 23                         ; softmax_online.py:26:23
	v_subrev_f32_e32 v2, s16, v9
	s_delay_alu instid0(VALU_DEP_1) | instskip(NEXT) | instid1(VALU_DEP_1)
	.loc	1 26 19 is_stmt 0               ; softmax_online.py:26:19
	v_mul_f32_e32 v3, 0x3fb8aa3b, v2
	v_cmp_gt_f32_e32 vcc_lo, 0xc2fc0000, v3
	s_wait_alu depctr_va_vcc(0)
	v_cndmask_b32_e64 v3, 0, 0x42800000, vcc_lo
	s_delay_alu instid0(VALU_DEP_1) | instskip(NEXT) | instid1(VALU_DEP_1)
	v_fmac_f32_e32 v3, 0x3fb8aa3b, v2
	v_exp_f32_e32 v2, v3
	v_cndmask_b32_e64 v3, 0, 0xffffffc0, vcc_lo
	s_delay_alu instid0(TRANS32_DEP_1) | instid1(VALU_DEP_1)
	v_ldexp_f32 v2, v2, v3
	s_delay_alu instid0(VALU_DEP_1) | instskip(NEXT) | instid1(VALU_DEP_1)
	.loc	1 26 28                         ; softmax_online.py:26:28
	v_div_scale_f32 v3, null, v8, v8, v2
	v_rcp_f32_e32 v4, v3
	s_delay_alu instid0(TRANS32_DEP_1) | instskip(NEXT) | instid1(VALU_DEP_1)
	v_fma_f32 v5, -v3, v4, 1.0
	v_fmac_f32_e32 v4, v5, v4
	v_div_scale_f32 v5, vcc_lo, v2, v8, v2
	s_delay_alu instid0(VALU_DEP_1) | instskip(NEXT) | instid1(VALU_DEP_1)
	v_mul_f32_e32 v9, v5, v4
	v_fma_f32 v10, -v3, v9, v5
	s_delay_alu instid0(VALU_DEP_1) | instskip(NEXT) | instid1(VALU_DEP_1)
	v_fmac_f32_e32 v9, v10, v4
	v_fma_f32 v3, -v3, v9, v5
	s_wait_alu depctr_va_vcc(0)
	s_delay_alu instid0(VALU_DEP_1) | instskip(NEXT) | instid1(VALU_DEP_1)
	v_div_fmas_f32 v3, v3, v4, v9
	v_div_fixup_f32 v2, v3, v8, v2
	.loc	1 27 36 is_stmt 1               ; softmax_online.py:27:36
	global_store_b32 v[0:1], v2, off offset:3584
	s_branch .LBB0_34
.LBB0_67:                               ; %._crit_edge
	.loc	1 22 4                          ; softmax_online.py:22:4
	s_endpgm
.Ltmp44:
	.section	.rodata,"a",@progbits
	.p2align	6, 0x0
	.amdhsa_kernel online_softmax_kernel
		.amdhsa_group_segment_fixed_size 0
		.amdhsa_private_segment_fixed_size 0
		.amdhsa_kernarg_size 40
		.amdhsa_user_sgpr_count 2
		.amdhsa_user_sgpr_dispatch_ptr 0
		.amdhsa_user_sgpr_queue_ptr 0
		.amdhsa_user_sgpr_kernarg_segment_ptr 1
		.amdhsa_user_sgpr_dispatch_id 0
		.amdhsa_user_sgpr_private_segment_size 0
		.amdhsa_wavefront_size32 1
		.amdhsa_uses_dynamic_stack 0
		.amdhsa_enable_private_segment 0
		.amdhsa_system_sgpr_workgroup_id_x 1
		.amdhsa_system_sgpr_workgroup_id_y 1
		.amdhsa_system_sgpr_workgroup_id_z 1
		.amdhsa_system_sgpr_workgroup_info 0
		.amdhsa_system_vgpr_workitem_id 0
		.amdhsa_next_free_vgpr 21
		.amdhsa_next_free_sgpr 22
		.amdhsa_reserve_vcc 1
		.amdhsa_float_round_mode_32 0
		.amdhsa_float_round_mode_16_64 0
		.amdhsa_float_denorm_mode_32 3
		.amdhsa_float_denorm_mode_16_64 3
		.amdhsa_fp16_overflow 0
		.amdhsa_workgroup_processor_mode 1
		.amdhsa_memory_ordered 1
		.amdhsa_forward_progress 1
		.amdhsa_inst_pref_size 36
		.amdhsa_round_robin_scheduling 0
		.amdhsa_exception_fp_ieee_invalid_op 0
		.amdhsa_exception_fp_denorm_src 0
		.amdhsa_exception_fp_ieee_div_zero 0
		.amdhsa_exception_fp_ieee_overflow 0
		.amdhsa_exception_fp_ieee_underflow 0
		.amdhsa_exception_fp_ieee_inexact 0
		.amdhsa_exception_int_div_zero 0
	.end_amdhsa_kernel
	.text
.Lfunc_end0:
	.size	online_softmax_kernel, .Lfunc_end0-online_softmax_kernel
	.cfi_endproc
                                        ; -- End function
	.set online_softmax_kernel.num_vgpr, 21
	.set online_softmax_kernel.num_agpr, 0
	.set online_softmax_kernel.numbered_sgpr, 22
	.set online_softmax_kernel.num_named_barrier, 0
	.set online_softmax_kernel.private_seg_size, 0
	.set online_softmax_kernel.uses_vcc, 1
	.set online_softmax_kernel.uses_flat_scratch, 0
	.set online_softmax_kernel.has_dyn_sized_stack, 0
	.set online_softmax_kernel.has_recursion, 0
	.set online_softmax_kernel.has_indirect_call, 0
	.section	.AMDGPU.csdata,"",@progbits
; Kernel info:
; codeLenInByte = 4500
; TotalNumSgprs: 24
; NumVgprs: 21
; ScratchSize: 0
; MemoryBound: 0
; FloatMode: 240
; IeeeMode: 1
; LDSByteSize: 0 bytes/workgroup (compile time only)
; SGPRBlocks: 0
; VGPRBlocks: 2
; NumSGPRsForWavesPerEU: 24
; NumVGPRsForWavesPerEU: 21
; Occupancy: 16
; WaveLimiterHint : 0
; COMPUTE_PGM_RSRC2:SCRATCH_EN: 0
; COMPUTE_PGM_RSRC2:USER_SGPR: 2
; COMPUTE_PGM_RSRC2:TRAP_HANDLER: 0
; COMPUTE_PGM_RSRC2:TGID_X_EN: 1
; COMPUTE_PGM_RSRC2:TGID_Y_EN: 1
; COMPUTE_PGM_RSRC2:TGID_Z_EN: 1
; COMPUTE_PGM_RSRC2:TIDIG_COMP_CNT: 0
	.text
	.p2alignl 7, 3214868480
	.fill 96, 4, 3214868480
	.section	.AMDGPU.gpr_maximums,"",@progbits
	.set amdgpu.max_num_vgpr, 0
	.set amdgpu.max_num_agpr, 0
	.set amdgpu.max_num_sgpr, 0
	.set amdgpu.max_num_named_barrier, 0
	.text
	.section	.debug_abbrev,"",@progbits
	.byte	1                               ; Abbreviation Code
	.byte	17                              ; DW_TAG_compile_unit
	.byte	1                               ; DW_CHILDREN_yes
	.byte	37                              ; DW_AT_producer
	.byte	14                              ; DW_FORM_strp
	.byte	19                              ; DW_AT_language
	.byte	5                               ; DW_FORM_data2
	.byte	3                               ; DW_AT_name
	.byte	14                              ; DW_FORM_strp
	.byte	16                              ; DW_AT_stmt_list
	.byte	23                              ; DW_FORM_sec_offset
	.byte	27                              ; DW_AT_comp_dir
	.byte	14                              ; DW_FORM_strp
	.byte	17                              ; DW_AT_low_pc
	.byte	1                               ; DW_FORM_addr
	.byte	18                              ; DW_AT_high_pc
	.byte	6                               ; DW_FORM_data4
	.byte	0                               ; EOM(1)
	.byte	0                               ; EOM(2)
	.byte	2                               ; Abbreviation Code
	.byte	46                              ; DW_TAG_subprogram
	.byte	0                               ; DW_CHILDREN_no
	.byte	3                               ; DW_AT_name
	.byte	14                              ; DW_FORM_strp
	.byte	32                              ; DW_AT_inline
	.byte	11                              ; DW_FORM_data1
	.byte	0                               ; EOM(1)
	.byte	0                               ; EOM(2)
	.byte	3                               ; Abbreviation Code
	.byte	46                              ; DW_TAG_subprogram
	.byte	1                               ; DW_CHILDREN_yes
	.byte	17                              ; DW_AT_low_pc
	.byte	1                               ; DW_FORM_addr
	.byte	18                              ; DW_AT_high_pc
	.byte	6                               ; DW_FORM_data4
	.byte	49                              ; DW_AT_abstract_origin
	.byte	19                              ; DW_FORM_ref4
	.byte	0                               ; EOM(1)
	.byte	0                               ; EOM(2)
	.byte	4                               ; Abbreviation Code
	.byte	29                              ; DW_TAG_inlined_subroutine
	.byte	1                               ; DW_CHILDREN_yes
	.byte	49                              ; DW_AT_abstract_origin
	.byte	19                              ; DW_FORM_ref4
	.byte	85                              ; DW_AT_ranges
	.byte	23                              ; DW_FORM_sec_offset
	.byte	88                              ; DW_AT_call_file
	.byte	11                              ; DW_FORM_data1
	.byte	89                              ; DW_AT_call_line
	.byte	11                              ; DW_FORM_data1
	.byte	87                              ; DW_AT_call_column
	.byte	11                              ; DW_FORM_data1
	.byte	0                               ; EOM(1)
	.byte	0                               ; EOM(2)
	.byte	5                               ; Abbreviation Code
	.byte	29                              ; DW_TAG_inlined_subroutine
	.byte	0                               ; DW_CHILDREN_no
	.byte	49                              ; DW_AT_abstract_origin
	.byte	19                              ; DW_FORM_ref4
	.byte	85                              ; DW_AT_ranges
	.byte	23                              ; DW_FORM_sec_offset
	.byte	88                              ; DW_AT_call_file
	.byte	11                              ; DW_FORM_data1
	.byte	89                              ; DW_AT_call_line
	.byte	5                               ; DW_FORM_data2
	.byte	87                              ; DW_AT_call_column
	.byte	11                              ; DW_FORM_data1
	.byte	0                               ; EOM(1)
	.byte	0                               ; EOM(2)
	.byte	6                               ; Abbreviation Code
	.byte	29                              ; DW_TAG_inlined_subroutine
	.byte	0                               ; DW_CHILDREN_no
	.byte	49                              ; DW_AT_abstract_origin
	.byte	19                              ; DW_FORM_ref4
	.byte	85                              ; DW_AT_ranges
	.byte	23                              ; DW_FORM_sec_offset
	.byte	88                              ; DW_AT_call_file
	.byte	11                              ; DW_FORM_data1
	.byte	89                              ; DW_AT_call_line
	.byte	11                              ; DW_FORM_data1
	.byte	87                              ; DW_AT_call_column
	.byte	11                              ; DW_FORM_data1
	.byte	0                               ; EOM(1)
	.byte	0                               ; EOM(2)
	;; [unrolled: 1-line block ×3, first 2 shown]
	.section	.debug_info,"",@progbits
.Lcu_begin0:
	.long	.Ldebug_info_end0-.Ldebug_info_start0 ; Length of Unit
.Ldebug_info_start0:
	.short	4                               ; DWARF version number
	.long	.debug_abbrev                   ; Offset Into Abbrev. Section
	.byte	8                               ; Address Size (in bytes)
	.byte	1                               ; Abbrev [1] 0xb:0x6b DW_TAG_compile_unit
	.long	.Linfo_string0                  ; DW_AT_producer
	.short	2                               ; DW_AT_language
	.long	.Linfo_string1                  ; DW_AT_name
	.long	.Lline_table_start0             ; DW_AT_stmt_list
	.long	.Linfo_string2                  ; DW_AT_comp_dir
	.quad	.Lfunc_begin0                   ; DW_AT_low_pc
	.long	.Lfunc_end0-.Lfunc_begin0       ; DW_AT_high_pc
	.byte	2                               ; Abbrev [2] 0x2a:0x6 DW_TAG_subprogram
	.long	.Linfo_string3                  ; DW_AT_name
	.byte	1                               ; DW_AT_inline
	.byte	3                               ; Abbrev [3] 0x30:0x45 DW_TAG_subprogram
	.quad	.Lfunc_begin0                   ; DW_AT_low_pc
	.long	.Lfunc_end0-.Lfunc_begin0       ; DW_AT_high_pc
	.long	42                              ; DW_AT_abstract_origin
	.byte	4                               ; Abbrev [4] 0x41:0x1a DW_TAG_inlined_subroutine
	.long	42                              ; DW_AT_abstract_origin
	.long	.Ldebug_ranges0                 ; DW_AT_ranges
	.byte	1                               ; DW_AT_call_file
	.byte	20                              ; DW_AT_call_line
	.byte	43                              ; DW_AT_call_column
	.byte	5                               ; Abbrev [5] 0x4d:0xd DW_TAG_inlined_subroutine
	.long	42                              ; DW_AT_abstract_origin
	.long	.Ldebug_ranges1                 ; DW_AT_ranges
	.byte	2                               ; DW_AT_call_file
	.short	293                             ; DW_AT_call_line
	.byte	36                              ; DW_AT_call_column
	.byte	0                               ; End Of Children Mark
	.byte	4                               ; Abbrev [4] 0x5b:0x19 DW_TAG_inlined_subroutine
	.long	42                              ; DW_AT_abstract_origin
	.long	.Ldebug_ranges2                 ; DW_AT_ranges
	.byte	1                               ; DW_AT_call_file
	.byte	18                              ; DW_AT_call_line
	.byte	27                              ; DW_AT_call_column
	.byte	6                               ; Abbrev [6] 0x67:0xc DW_TAG_inlined_subroutine
	.long	42                              ; DW_AT_abstract_origin
	.long	.Ldebug_ranges3                 ; DW_AT_ranges
	.byte	2                               ; DW_AT_call_file
	.byte	191                             ; DW_AT_call_line
	.byte	40                              ; DW_AT_call_column
	.byte	0                               ; End Of Children Mark
	.byte	0                               ; End Of Children Mark
	;; [unrolled: 1-line block ×3, first 2 shown]
.Ldebug_info_end0:
	.section	.debug_ranges,"",@progbits
.Ldebug_ranges0:
	.quad	.Ltmp0-.Lfunc_begin0
	.quad	.Ltmp1-.Lfunc_begin0
	;; [unrolled: 1-line block ×16, first 2 shown]
	.quad	0
	.quad	0
.Ldebug_ranges1:
	.quad	.Ltmp29-.Lfunc_begin0
	.quad	.Ltmp30-.Lfunc_begin0
	;; [unrolled: 1-line block ×14, first 2 shown]
	.quad	0
	.quad	0
.Ldebug_ranges2:
	.quad	.Ltmp6-.Lfunc_begin0
	.quad	.Ltmp26-.Lfunc_begin0
	;; [unrolled: 1-line block ×4, first 2 shown]
	.quad	0
	.quad	0
.Ldebug_ranges3:
	.quad	.Ltmp6-.Lfunc_begin0
	.quad	.Ltmp7-.Lfunc_begin0
	;; [unrolled: 1-line block ×20, first 2 shown]
	.quad	0
	.quad	0
	.section	.debug_str,"MS",@progbits,1
.Linfo_string0:
	.asciz	"triton"                        ; string offset=0
.Linfo_string1:
	.asciz	"softmax_online.py"             ; string offset=7
.Linfo_string2:
	.asciz	"/root/src/amdgpu-assembly/repos/triton-lang__triton-aot" ; string offset=25
.Linfo_string3:
	.asciz	"online_softmax_kernel"         ; string offset=81
	.section	".note.GNU-stack","",@progbits
	.amdgpu_metadata
---
amdhsa.kernels:
  - .args:
      - .address_space:  global
        .offset:         0
        .size:           8
        .value_kind:     global_buffer
      - .address_space:  global
        .offset:         8
        .size:           8
        .value_kind:     global_buffer
      - .offset:         16
        .size:           4
        .value_kind:     by_value
      - .offset:         20
        .size:           4
        .value_kind:     by_value
      - .address_space:  global
        .offset:         24
        .size:           8
        .value_kind:     global_buffer
      - .address_space:  global
        .offset:         32
        .size:           8
        .value_kind:     global_buffer
    .group_segment_fixed_size: 0
    .kernarg_segment_align: 8
    .kernarg_segment_size: 40
    .max_flat_workgroup_size: 128
    .name:           online_softmax_kernel
    .private_segment_fixed_size: 0
    .sgpr_count:     24
    .sgpr_spill_count: 0
    .symbol:         online_softmax_kernel.kd
    .uniform_work_group_size: 1
    .uses_dynamic_stack: false
    .vgpr_count:     21
    .vgpr_spill_count: 0
    .wavefront_size: 32
    .workgroup_processor_mode: 1
amdhsa.target:   amdgcn-amd-amdhsa--gfx1201
amdhsa.version:
  - 1
  - 2
...

	.end_amdgpu_metadata
	.section	.debug_line,"",@progbits
.Lline_table_start0:
